;; amdgpu-corpus repo=ROCm/rocFFT kind=compiled arch=gfx906 opt=O3
	.text
	.amdgcn_target "amdgcn-amd-amdhsa--gfx906"
	.amdhsa_code_object_version 6
	.protected	fft_rtc_back_len2560_factors_4_4_4_10_4_wgs_128_tpt_128_halfLds_sp_op_CI_CI_unitstride_sbrr_dirReg ; -- Begin function fft_rtc_back_len2560_factors_4_4_4_10_4_wgs_128_tpt_128_halfLds_sp_op_CI_CI_unitstride_sbrr_dirReg
	.globl	fft_rtc_back_len2560_factors_4_4_4_10_4_wgs_128_tpt_128_halfLds_sp_op_CI_CI_unitstride_sbrr_dirReg
	.p2align	8
	.type	fft_rtc_back_len2560_factors_4_4_4_10_4_wgs_128_tpt_128_halfLds_sp_op_CI_CI_unitstride_sbrr_dirReg,@function
fft_rtc_back_len2560_factors_4_4_4_10_4_wgs_128_tpt_128_halfLds_sp_op_CI_CI_unitstride_sbrr_dirReg: ; @fft_rtc_back_len2560_factors_4_4_4_10_4_wgs_128_tpt_128_halfLds_sp_op_CI_CI_unitstride_sbrr_dirReg
; %bb.0:
	s_load_dwordx4 s[12:15], s[4:5], 0x0
	s_load_dwordx4 s[8:11], s[4:5], 0x58
	;; [unrolled: 1-line block ×3, first 2 shown]
	v_mov_b32_e32 v7, 0
	v_mov_b32_e32 v5, 0
	s_waitcnt lgkmcnt(0)
	v_cmp_lt_u64_e64 s[0:1], s[14:15], 2
	v_mov_b32_e32 v9, s6
	v_mov_b32_e32 v10, v7
	s_and_b64 vcc, exec, s[0:1]
	v_mov_b32_e32 v6, 0
	s_cbranch_vccnz .LBB0_8
; %bb.1:
	s_load_dwordx2 s[0:1], s[4:5], 0x10
	s_add_u32 s2, s18, 8
	s_addc_u32 s3, s19, 0
	s_add_u32 s6, s16, 8
	s_addc_u32 s7, s17, 0
	v_mov_b32_e32 v5, 0
	s_waitcnt lgkmcnt(0)
	s_add_u32 s20, s0, 8
	v_mov_b32_e32 v6, 0
	v_mov_b32_e32 v1, v5
	s_addc_u32 s21, s1, 0
	s_mov_b64 s[22:23], 1
	v_mov_b32_e32 v2, v6
.LBB0_2:                                ; =>This Inner Loop Header: Depth=1
	s_load_dwordx2 s[24:25], s[20:21], 0x0
                                        ; implicit-def: $vgpr3_vgpr4
	s_waitcnt lgkmcnt(0)
	v_or_b32_e32 v8, s25, v10
	v_cmp_ne_u64_e32 vcc, 0, v[7:8]
	s_and_saveexec_b64 s[0:1], vcc
	s_xor_b64 s[26:27], exec, s[0:1]
	s_cbranch_execz .LBB0_4
; %bb.3:                                ;   in Loop: Header=BB0_2 Depth=1
	v_cvt_f32_u32_e32 v3, s24
	v_cvt_f32_u32_e32 v4, s25
	s_sub_u32 s0, 0, s24
	s_subb_u32 s1, 0, s25
	v_mac_f32_e32 v3, 0x4f800000, v4
	v_rcp_f32_e32 v3, v3
	v_mul_f32_e32 v3, 0x5f7ffffc, v3
	v_mul_f32_e32 v4, 0x2f800000, v3
	v_trunc_f32_e32 v4, v4
	v_mac_f32_e32 v3, 0xcf800000, v4
	v_cvt_u32_f32_e32 v4, v4
	v_cvt_u32_f32_e32 v3, v3
	v_mul_lo_u32 v8, s0, v4
	v_mul_hi_u32 v11, s0, v3
	v_mul_lo_u32 v13, s1, v3
	v_mul_lo_u32 v12, s0, v3
	v_add_u32_e32 v8, v11, v8
	v_add_u32_e32 v8, v8, v13
	v_mul_hi_u32 v11, v3, v12
	v_mul_lo_u32 v13, v3, v8
	v_mul_hi_u32 v15, v3, v8
	v_mul_hi_u32 v14, v4, v12
	v_mul_lo_u32 v12, v4, v12
	v_mul_hi_u32 v16, v4, v8
	v_add_co_u32_e32 v11, vcc, v11, v13
	v_addc_co_u32_e32 v13, vcc, 0, v15, vcc
	v_mul_lo_u32 v8, v4, v8
	v_add_co_u32_e32 v11, vcc, v11, v12
	v_addc_co_u32_e32 v11, vcc, v13, v14, vcc
	v_addc_co_u32_e32 v12, vcc, 0, v16, vcc
	v_add_co_u32_e32 v8, vcc, v11, v8
	v_addc_co_u32_e32 v11, vcc, 0, v12, vcc
	v_add_co_u32_e32 v3, vcc, v3, v8
	v_addc_co_u32_e32 v4, vcc, v4, v11, vcc
	v_mul_lo_u32 v8, s0, v4
	v_mul_hi_u32 v11, s0, v3
	v_mul_lo_u32 v12, s1, v3
	v_mul_lo_u32 v13, s0, v3
	v_add_u32_e32 v8, v11, v8
	v_add_u32_e32 v8, v8, v12
	v_mul_lo_u32 v14, v3, v8
	v_mul_hi_u32 v15, v3, v13
	v_mul_hi_u32 v16, v3, v8
	;; [unrolled: 1-line block ×3, first 2 shown]
	v_mul_lo_u32 v13, v4, v13
	v_mul_hi_u32 v11, v4, v8
	v_add_co_u32_e32 v14, vcc, v15, v14
	v_addc_co_u32_e32 v15, vcc, 0, v16, vcc
	v_mul_lo_u32 v8, v4, v8
	v_add_co_u32_e32 v13, vcc, v14, v13
	v_addc_co_u32_e32 v12, vcc, v15, v12, vcc
	v_addc_co_u32_e32 v11, vcc, 0, v11, vcc
	v_add_co_u32_e32 v8, vcc, v12, v8
	v_addc_co_u32_e32 v11, vcc, 0, v11, vcc
	v_add_co_u32_e32 v8, vcc, v3, v8
	v_addc_co_u32_e32 v11, vcc, v4, v11, vcc
	v_mad_u64_u32 v[3:4], s[0:1], v9, v11, 0
	v_mul_hi_u32 v12, v9, v8
	v_add_co_u32_e32 v13, vcc, v12, v3
	v_addc_co_u32_e32 v14, vcc, 0, v4, vcc
	v_mad_u64_u32 v[3:4], s[0:1], v10, v8, 0
	v_mad_u64_u32 v[11:12], s[0:1], v10, v11, 0
	v_add_co_u32_e32 v3, vcc, v13, v3
	v_addc_co_u32_e32 v3, vcc, v14, v4, vcc
	v_addc_co_u32_e32 v4, vcc, 0, v12, vcc
	v_add_co_u32_e32 v8, vcc, v3, v11
	v_addc_co_u32_e32 v11, vcc, 0, v4, vcc
	v_mul_lo_u32 v12, s25, v8
	v_mul_lo_u32 v13, s24, v11
	v_mad_u64_u32 v[3:4], s[0:1], s24, v8, 0
	v_add3_u32 v4, v4, v13, v12
	v_sub_u32_e32 v12, v10, v4
	v_mov_b32_e32 v13, s25
	v_sub_co_u32_e32 v3, vcc, v9, v3
	v_subb_co_u32_e64 v12, s[0:1], v12, v13, vcc
	v_subrev_co_u32_e64 v13, s[0:1], s24, v3
	v_subbrev_co_u32_e64 v12, s[0:1], 0, v12, s[0:1]
	v_cmp_le_u32_e64 s[0:1], s25, v12
	v_cndmask_b32_e64 v14, 0, -1, s[0:1]
	v_cmp_le_u32_e64 s[0:1], s24, v13
	v_cndmask_b32_e64 v13, 0, -1, s[0:1]
	v_cmp_eq_u32_e64 s[0:1], s25, v12
	v_cndmask_b32_e64 v12, v14, v13, s[0:1]
	v_add_co_u32_e64 v13, s[0:1], 2, v8
	v_addc_co_u32_e64 v14, s[0:1], 0, v11, s[0:1]
	v_add_co_u32_e64 v15, s[0:1], 1, v8
	v_addc_co_u32_e64 v16, s[0:1], 0, v11, s[0:1]
	v_subb_co_u32_e32 v4, vcc, v10, v4, vcc
	v_cmp_ne_u32_e64 s[0:1], 0, v12
	v_cmp_le_u32_e32 vcc, s25, v4
	v_cndmask_b32_e64 v12, v16, v14, s[0:1]
	v_cndmask_b32_e64 v14, 0, -1, vcc
	v_cmp_le_u32_e32 vcc, s24, v3
	v_cndmask_b32_e64 v3, 0, -1, vcc
	v_cmp_eq_u32_e32 vcc, s25, v4
	v_cndmask_b32_e32 v3, v14, v3, vcc
	v_cmp_ne_u32_e32 vcc, 0, v3
	v_cndmask_b32_e64 v3, v15, v13, s[0:1]
	v_cndmask_b32_e32 v4, v11, v12, vcc
	v_cndmask_b32_e32 v3, v8, v3, vcc
.LBB0_4:                                ;   in Loop: Header=BB0_2 Depth=1
	s_andn2_saveexec_b64 s[0:1], s[26:27]
	s_cbranch_execz .LBB0_6
; %bb.5:                                ;   in Loop: Header=BB0_2 Depth=1
	v_cvt_f32_u32_e32 v3, s24
	s_sub_i32 s26, 0, s24
	v_rcp_iflag_f32_e32 v3, v3
	v_mul_f32_e32 v3, 0x4f7ffffe, v3
	v_cvt_u32_f32_e32 v3, v3
	v_mul_lo_u32 v4, s26, v3
	v_mul_hi_u32 v4, v3, v4
	v_add_u32_e32 v3, v3, v4
	v_mul_hi_u32 v3, v9, v3
	v_mul_lo_u32 v4, v3, s24
	v_add_u32_e32 v8, 1, v3
	v_sub_u32_e32 v4, v9, v4
	v_subrev_u32_e32 v11, s24, v4
	v_cmp_le_u32_e32 vcc, s24, v4
	v_cndmask_b32_e32 v4, v4, v11, vcc
	v_cndmask_b32_e32 v3, v3, v8, vcc
	v_add_u32_e32 v8, 1, v3
	v_cmp_le_u32_e32 vcc, s24, v4
	v_cndmask_b32_e32 v3, v3, v8, vcc
	v_mov_b32_e32 v4, v7
.LBB0_6:                                ;   in Loop: Header=BB0_2 Depth=1
	s_or_b64 exec, exec, s[0:1]
	v_mul_lo_u32 v8, v4, s24
	v_mul_lo_u32 v13, v3, s25
	v_mad_u64_u32 v[11:12], s[0:1], v3, s24, 0
	s_load_dwordx2 s[0:1], s[6:7], 0x0
	s_load_dwordx2 s[24:25], s[2:3], 0x0
	v_add3_u32 v8, v12, v13, v8
	v_sub_co_u32_e32 v9, vcc, v9, v11
	v_subb_co_u32_e32 v8, vcc, v10, v8, vcc
	s_waitcnt lgkmcnt(0)
	v_mul_lo_u32 v10, s0, v8
	v_mul_lo_u32 v11, s1, v9
	v_mad_u64_u32 v[5:6], s[0:1], s0, v9, v[5:6]
	v_mul_lo_u32 v8, s24, v8
	v_mul_lo_u32 v12, s25, v9
	v_mad_u64_u32 v[1:2], s[0:1], s24, v9, v[1:2]
	s_add_u32 s22, s22, 1
	s_addc_u32 s23, s23, 0
	s_add_u32 s2, s2, 8
	v_add3_u32 v2, v12, v2, v8
	s_addc_u32 s3, s3, 0
	v_mov_b32_e32 v8, s14
	s_add_u32 s6, s6, 8
	v_mov_b32_e32 v9, s15
	s_addc_u32 s7, s7, 0
	v_cmp_ge_u64_e32 vcc, s[22:23], v[8:9]
	s_add_u32 s20, s20, 8
	v_add3_u32 v6, v11, v6, v10
	s_addc_u32 s21, s21, 0
	s_cbranch_vccnz .LBB0_9
; %bb.7:                                ;   in Loop: Header=BB0_2 Depth=1
	v_mov_b32_e32 v10, v4
	v_mov_b32_e32 v9, v3
	s_branch .LBB0_2
.LBB0_8:
	v_mov_b32_e32 v1, v5
	v_mov_b32_e32 v3, v9
	;; [unrolled: 1-line block ×4, first 2 shown]
.LBB0_9:
	s_load_dwordx2 s[0:1], s[4:5], 0x28
	s_lshl_b64 s[6:7], s[14:15], 3
	s_add_u32 s2, s18, s6
	s_addc_u32 s3, s19, s7
                                        ; implicit-def: $sgpr14_sgpr15
                                        ; implicit-def: $vgpr46
                                        ; implicit-def: $vgpr48
                                        ; implicit-def: $vgpr49
                                        ; implicit-def: $vgpr47
	s_waitcnt lgkmcnt(0)
	v_cmp_gt_u64_e32 vcc, s[0:1], v[3:4]
	v_cmp_le_u64_e64 s[0:1], s[0:1], v[3:4]
	s_and_saveexec_b64 s[4:5], s[0:1]
	s_xor_b64 s[0:1], exec, s[4:5]
; %bb.10:
	v_or_b32_e32 v46, 0x80, v0
	v_or_b32_e32 v48, 0x100, v0
	;; [unrolled: 1-line block ×4, first 2 shown]
	s_mov_b64 s[14:15], 0
                                        ; implicit-def: $vgpr5_vgpr6
; %bb.11:
	s_or_saveexec_b64 s[4:5], s[0:1]
	v_mov_b32_e32 v41, s15
	v_mov_b32_e32 v14, s14
	;; [unrolled: 1-line block ×20, first 2 shown]
                                        ; implicit-def: $vgpr7
                                        ; implicit-def: $vgpr17
                                        ; implicit-def: $vgpr11
                                        ; implicit-def: $vgpr27
                                        ; implicit-def: $vgpr23
                                        ; implicit-def: $vgpr25
                                        ; implicit-def: $vgpr29
                                        ; implicit-def: $vgpr35
                                        ; implicit-def: $vgpr21
                                        ; implicit-def: $vgpr13
	s_xor_b64 exec, exec, s[4:5]
	s_cbranch_execz .LBB0_13
; %bb.12:
	s_add_u32 s0, s16, s6
	s_addc_u32 s1, s17, s7
	s_load_dwordx2 s[0:1], s[0:1], 0x0
	v_mov_b32_e32 v11, s9
	v_lshlrev_b64 v[5:6], 3, v[5:6]
	v_lshlrev_b32_e32 v31, 3, v0
	v_or_b32_e32 v47, 0x200, v0
	s_waitcnt lgkmcnt(0)
	v_mul_lo_u32 v9, s1, v3
	v_mul_lo_u32 v10, s0, v4
	v_mad_u64_u32 v[7:8], s[0:1], s0, v3, 0
	v_or_b32_e32 v46, 0x80, v0
	v_add3_u32 v8, v8, v10, v9
	v_lshlrev_b64 v[7:8], 3, v[7:8]
	v_add_co_u32_e64 v7, s[0:1], s8, v7
	v_addc_co_u32_e64 v8, s[0:1], v11, v8, s[0:1]
	v_add_co_u32_e64 v5, s[0:1], v7, v5
	v_addc_co_u32_e64 v30, s[0:1], v8, v6, s[0:1]
	;; [unrolled: 2-line block ×3, first 2 shown]
	v_or_b32_e32 v6, 0x1400, v31
	v_add_co_u32_e64 v10, s[0:1], v5, v6
	v_addc_co_u32_e64 v11, s[0:1], 0, v30, s[0:1]
	v_or_b32_e32 v6, 0x2800, v31
	v_add_co_u32_e64 v16, s[0:1], v5, v6
	v_addc_co_u32_e64 v17, s[0:1], 0, v30, s[0:1]
	v_or_b32_e32 v6, 0x3c00, v31
	v_add_co_u32_e64 v18, s[0:1], v5, v6
	v_addc_co_u32_e64 v19, s[0:1], 0, v30, s[0:1]
	v_or_b32_e32 v6, 0x1800, v31
	v_add_co_u32_e64 v20, s[0:1], v5, v6
	v_addc_co_u32_e64 v21, s[0:1], 0, v30, s[0:1]
	global_load_dwordx2 v[14:15], v[10:11], off
	global_load_dwordx2 v[6:7], v[16:17], off
	;; [unrolled: 1-line block ×4, first 2 shown]
	v_or_b32_e32 v10, 0x2c00, v31
	v_add_co_u32_e64 v22, s[0:1], v5, v10
	v_addc_co_u32_e64 v23, s[0:1], 0, v30, s[0:1]
	v_or_b32_e32 v10, 0x4000, v31
	v_add_co_u32_e64 v24, s[0:1], v5, v10
	v_addc_co_u32_e64 v25, s[0:1], 0, v30, s[0:1]
	;; [unrolled: 3-line block ×4, first 2 shown]
	global_load_dwordx2 v[16:17], v[22:23], off
	global_load_dwordx2 v[20:21], v[24:25], off
	;; [unrolled: 1-line block ×4, first 2 shown]
	v_or_b32_e32 v22, 0x4400, v31
	v_add_co_u32_e64 v50, s[0:1], v5, v22
	v_addc_co_u32_e64 v51, s[0:1], 0, v30, s[0:1]
	v_or_b32_e32 v22, 0x2000, v31
	v_add_co_u32_e64 v52, s[0:1], v5, v22
	v_addc_co_u32_e64 v53, s[0:1], 0, v30, s[0:1]
	;; [unrolled: 3-line block ×4, first 2 shown]
	v_lshlrev_b32_e32 v22, 3, v47
	v_add_co_u32_e64 v58, s[0:1], v5, v22
	v_addc_co_u32_e64 v59, s[0:1], 0, v30, s[0:1]
	v_or_b32_e32 v22, 0x2400, v31
	v_add_co_u32_e64 v60, s[0:1], v5, v22
	v_addc_co_u32_e64 v61, s[0:1], 0, v30, s[0:1]
	v_or_b32_e32 v22, 0x3800, v31
	;; [unrolled: 3-line block ×3, first 2 shown]
	v_add_co_u32_e64 v64, s[0:1], v5, v22
	v_addc_co_u32_e64 v65, s[0:1], 0, v30, s[0:1]
	global_load_dwordx2 v[40:41], v[48:49], off
	global_load_dwordx2 v[44:45], v[48:49], off offset:1024
	global_load_dwordx2 v[42:43], v[48:49], off offset:2048
	;; [unrolled: 1-line block ×3, first 2 shown]
	global_load_dwordx2 v[34:35], v[50:51], off
	global_load_dwordx2 v[36:37], v[52:53], off
	;; [unrolled: 1-line block ×8, first 2 shown]
	v_or_b32_e32 v48, 0x100, v0
	v_or_b32_e32 v49, 0x180, v0
.LBB0_13:
	s_or_b64 exec, exec, s[4:5]
	s_waitcnt vmcnt(11)
	v_sub_f32_e32 v50, v40, v6
	v_sub_f32_e32 v7, v41, v7
	v_fma_f32 v6, v40, 2.0, -v50
	v_fma_f32 v40, v41, 2.0, -v7
	v_sub_f32_e32 v41, v14, v12
	v_fma_f32 v5, v14, 2.0, -v41
	v_sub_f32_e32 v13, v15, v13
	v_sub_f32_e32 v5, v6, v5
	v_fma_f32 v14, v6, 2.0, -v5
	v_add_f32_e32 v6, v50, v13
	v_fma_f32 v12, v15, 2.0, -v13
	v_fma_f32 v15, v50, 2.0, -v6
	s_waitcnt vmcnt(10)
	v_sub_f32_e32 v50, v44, v16
	v_sub_f32_e32 v51, v45, v17
	v_sub_f32_e32 v13, v7, v41
	v_fma_f32 v17, v44, 2.0, -v50
	v_fma_f32 v44, v45, 2.0, -v51
	v_sub_f32_e32 v45, v8, v20
	v_sub_f32_e32 v21, v9, v21
	v_fma_f32 v41, v7, 2.0, -v13
	v_fma_f32 v7, v8, 2.0, -v45
	;; [unrolled: 1-line block ×3, first 2 shown]
	v_sub_f32_e32 v16, v44, v8
	v_add_f32_e32 v8, v50, v21
	v_fma_f32 v21, v50, 2.0, -v8
	s_waitcnt vmcnt(9)
	v_sub_f32_e32 v50, v42, v10
	v_sub_f32_e32 v11, v43, v11
	;; [unrolled: 1-line block ×3, first 2 shown]
	v_fma_f32 v10, v42, 2.0, -v50
	v_fma_f32 v42, v43, 2.0, -v11
	s_waitcnt vmcnt(7)
	v_sub_f32_e32 v43, v18, v34
	v_sub_f32_e32 v35, v19, v35
	v_fma_f32 v20, v17, 2.0, -v7
	v_sub_f32_e32 v17, v51, v45
	v_fma_f32 v9, v18, 2.0, -v43
	v_fma_f32 v18, v19, 2.0, -v35
	v_sub_f32_e32 v19, v11, v43
	v_fma_f32 v45, v51, 2.0, -v17
	v_fma_f32 v43, v11, 2.0, -v19
	s_waitcnt vmcnt(5)
	v_sub_f32_e32 v11, v38, v26
	v_sub_f32_e32 v26, v39, v27
	s_waitcnt vmcnt(4)
	v_sub_f32_e32 v51, v36, v28
	v_sub_f32_e32 v28, v37, v29
	;; [unrolled: 1-line block ×3, first 2 shown]
	v_fma_f32 v39, v39, 2.0, -v26
	v_fma_f32 v29, v37, 2.0, -v28
	;; [unrolled: 1-line block ×3, first 2 shown]
	v_add_f32_e32 v10, v50, v35
	v_fma_f32 v27, v36, 2.0, -v51
	v_sub_f32_e32 v36, v39, v29
	v_add_f32_e32 v28, v11, v28
	v_fma_f32 v35, v50, 2.0, -v10
	v_fma_f32 v38, v38, 2.0, -v11
	v_fma_f32 v50, v39, 2.0, -v36
	v_sub_f32_e32 v37, v26, v51
	v_fma_f32 v39, v11, 2.0, -v28
	s_waitcnt vmcnt(1)
	v_sub_f32_e32 v11, v32, v22
	v_sub_f32_e32 v22, v33, v23
	s_waitcnt vmcnt(0)
	v_sub_f32_e32 v24, v30, v24
	v_sub_f32_e32 v25, v31, v25
	v_fma_f32 v51, v26, 2.0, -v37
	v_fma_f32 v23, v32, 2.0, -v11
	;; [unrolled: 1-line block ×5, first 2 shown]
	v_sub_f32_e32 v27, v38, v27
	v_sub_f32_e32 v29, v23, v29
	;; [unrolled: 1-line block ×3, first 2 shown]
	v_add_f32_e32 v30, v11, v25
	v_sub_f32_e32 v12, v40, v12
	v_fma_f32 v38, v38, 2.0, -v27
	v_fma_f32 v52, v23, 2.0, -v29
	v_fma_f32 v54, v26, 2.0, -v32
	v_fma_f32 v53, v11, 2.0, -v30
	v_lshl_add_u32 v11, v0, 4, 0
	v_lshl_add_u32 v23, v46, 4, 0
	;; [unrolled: 1-line block ×4, first 2 shown]
	v_fma_f32 v40, v40, 2.0, -v12
	v_sub_f32_e32 v18, v42, v18
	v_sub_f32_e32 v33, v22, v24
	ds_write2_b64 v11, v[14:15], v[5:6] offset1:1
	ds_write2_b64 v23, v[20:21], v[7:8] offset1:1
	;; [unrolled: 1-line block ×4, first 2 shown]
	v_lshl_add_u32 v27, v47, 4, 0
	v_mad_i32_i24 v24, v0, -12, v11
	v_mad_i32_i24 v28, v46, -12, v23
	s_load_dwordx2 s[0:1], s[2:3], 0x0
	v_fma_f32 v44, v44, 2.0, -v16
	v_fma_f32 v42, v42, 2.0, -v18
	;; [unrolled: 1-line block ×3, first 2 shown]
	ds_write2_b64 v27, v[52:53], v[29:30] offset1:1
	s_waitcnt lgkmcnt(0)
	s_barrier
	ds_read2st64_b32 v[14:15], v24 offset1:10
	ds_read2st64_b32 v[20:21], v24 offset0:20 offset1:22
	ds_read2st64_b32 v[34:35], v24 offset0:28 offset1:30
	;; [unrolled: 1-line block ×4, first 2 shown]
	v_mad_i32_i24 v29, v48, -12, v25
	ds_read2st64_b32 v[56:57], v24 offset0:24 offset1:26
	v_mad_i32_i24 v30, v49, -12, v26
	ds_read2st64_b32 v[58:59], v24 offset0:16 offset1:18
	ds_read2st64_b32 v[60:61], v24 offset0:36 offset1:38
	v_mad_i32_i24 v31, v47, -12, v27
	ds_read_b32 v22, v28
	ds_read_b32 v62, v29
	;; [unrolled: 1-line block ×4, first 2 shown]
	s_waitcnt lgkmcnt(0)
	s_barrier
	ds_write2_b64 v11, v[40:41], v[12:13] offset1:1
	ds_write2_b64 v23, v[44:45], v[16:17] offset1:1
	;; [unrolled: 1-line block ×5, first 2 shown]
	v_and_b32_e32 v13, 3, v0
	v_mul_u32_u24_e32 v5, 3, v13
	v_lshlrev_b32_e32 v5, 3, v5
	s_waitcnt lgkmcnt(0)
	s_barrier
	global_load_dwordx4 v[7:10], v5, s[12:13]
	global_load_dwordx2 v[11:12], v5, s[12:13] offset:16
	ds_read2st64_b32 v[16:17], v24 offset1:10
	ds_read2st64_b32 v[18:19], v24 offset0:20 offset1:22
	ds_read2st64_b32 v[32:33], v24 offset0:28 offset1:30
	;; [unrolled: 1-line block ×5, first 2 shown]
	v_lshlrev_b32_e32 v6, 2, v0
	s_movk_i32 s2, 0x1f0
	v_lshlrev_b32_e32 v5, 2, v46
	s_waitcnt vmcnt(1) lgkmcnt(5)
	v_mul_f32_e32 v44, v17, v8
	v_fmac_f32_e32 v44, v15, v7
	v_mul_f32_e32 v15, v15, v8
	v_fma_f32 v15, v17, v7, -v15
	s_waitcnt lgkmcnt(4)
	v_mul_f32_e32 v17, v18, v10
	v_fmac_f32_e32 v17, v20, v9
	v_mul_f32_e32 v20, v20, v10
	v_fma_f32 v18, v18, v9, -v20
	v_mul_f32_e32 v20, v19, v10
	v_fmac_f32_e32 v20, v21, v9
	v_mul_f32_e32 v21, v21, v10
	v_fma_f32 v50, v19, v9, -v21
	v_mul_f32_e32 v19, v38, v8
	v_mul_f32_e32 v21, v39, v8
	s_waitcnt lgkmcnt(2)
	v_mul_f32_e32 v45, v36, v8
	v_fma_f32 v51, v36, v7, -v19
	v_mul_f32_e32 v19, v37, v8
	v_fma_f32 v54, v37, v7, -v21
	v_mul_f32_e32 v36, v56, v10
	v_mul_f32_e32 v37, v57, v10
	s_waitcnt lgkmcnt(1)
	v_mul_f32_e32 v21, v40, v10
	v_fma_f32 v40, v40, v9, -v36
	v_mul_f32_e32 v36, v41, v10
	v_fma_f32 v41, v41, v9, -v37
	v_mul_f32_e32 v37, v58, v8
	v_fmac_f32_e32 v45, v38, v7
	s_waitcnt lgkmcnt(0)
	v_mul_f32_e32 v38, v42, v8
	v_fma_f32 v42, v42, v7, -v37
	v_mul_f32_e32 v37, v43, v8
	v_mul_f32_e32 v8, v59, v8
	v_fmac_f32_e32 v19, v39, v7
	v_fmac_f32_e32 v38, v58, v7
	;; [unrolled: 1-line block ×3, first 2 shown]
	v_fma_f32 v43, v43, v7, -v8
	v_mul_f32_e32 v39, v32, v10
	v_mul_f32_e32 v7, v34, v10
	v_fmac_f32_e32 v21, v56, v9
	v_fmac_f32_e32 v36, v57, v9
	;; [unrolled: 1-line block ×3, first 2 shown]
	v_fma_f32 v55, v32, v9, -v7
	ds_read2st64_b32 v[7:8], v24 offset0:32 offset1:34
	ds_read2st64_b32 v[9:10], v24 offset0:36 offset1:38
	s_waitcnt vmcnt(0)
	v_mul_f32_e32 v32, v33, v12
	v_mul_f32_e32 v34, v35, v12
	v_fmac_f32_e32 v32, v35, v11
	v_fma_f32 v33, v33, v11, -v34
	s_waitcnt lgkmcnt(1)
	v_mul_f32_e32 v34, v7, v12
	v_mul_f32_e32 v35, v52, v12
	v_fmac_f32_e32 v34, v52, v11
	v_fma_f32 v35, v7, v11, -v35
	v_mul_f32_e32 v52, v8, v12
	v_mul_f32_e32 v7, v53, v12
	v_fmac_f32_e32 v52, v53, v11
	v_fma_f32 v53, v8, v11, -v7
	v_mul_f32_e32 v7, v60, v12
	s_waitcnt lgkmcnt(0)
	v_fma_f32 v57, v9, v11, -v7
	v_mul_f32_e32 v7, v61, v12
	v_mul_f32_e32 v58, v10, v12
	v_fma_f32 v10, v10, v11, -v7
	v_sub_f32_e32 v7, v14, v17
	v_fma_f32 v8, v14, 2.0, -v7
	v_sub_f32_e32 v14, v44, v32
	v_sub_f32_e32 v17, v15, v33
	;; [unrolled: 1-line block ×3, first 2 shown]
	v_mul_f32_e32 v56, v9, v12
	v_fma_f32 v9, v44, 2.0, -v14
	v_fma_f32 v16, v16, 2.0, -v18
	;; [unrolled: 1-line block ×3, first 2 shown]
	v_sub_f32_e32 v66, v18, v14
	v_sub_f32_e32 v14, v22, v20
	v_fmac_f32_e32 v58, v61, v11
	v_sub_f32_e32 v61, v16, v15
	v_fma_f32 v15, v22, 2.0, -v14
	v_sub_f32_e32 v22, v45, v34
	v_sub_f32_e32 v32, v8, v9
	v_and_or_b32 v9, v6, s2, v13
	v_fma_f32 v65, v16, 2.0, -v61
	v_sub_f32_e32 v68, v51, v35
	v_fma_f32 v16, v45, 2.0, -v22
	s_movk_i32 s2, 0x3f0
	v_fmac_f32_e32 v56, v60, v11
	v_add_f32_e32 v33, v7, v17
	v_lshl_add_u32 v44, v9, 2, 0
	v_sub_f32_e32 v16, v15, v16
	v_add_f32_e32 v17, v14, v68
	v_and_or_b32 v35, v5, s2, v13
	ds_read_b32 v11, v28
	ds_read_b32 v12, v29
	;; [unrolled: 1-line block ×4, first 2 shown]
	v_fma_f32 v8, v8, 2.0, -v32
	v_fma_f32 v7, v7, 2.0, -v33
	s_waitcnt lgkmcnt(0)
	s_barrier
	v_fma_f32 v15, v15, 2.0, -v16
	v_fma_f32 v14, v14, 2.0, -v17
	v_sub_f32_e32 v45, v19, v52
	v_sub_f32_e32 v52, v54, v53
	ds_write2_b32 v44, v32, v33 offset0:8 offset1:12
	v_sub_f32_e32 v32, v63, v36
	v_sub_f32_e32 v53, v38, v56
	;; [unrolled: 1-line block ×3, first 2 shown]
	v_lshl_add_u32 v57, v35, 2, 0
	ds_write2_b32 v44, v8, v7 offset1:4
	v_lshlrev_b32_e32 v9, 2, v48
	ds_write2_b32 v57, v15, v14 offset1:4
	v_add_f32_e32 v14, v32, v56
	s_movk_i32 s2, 0x5f0
	v_lshlrev_b32_e32 v8, 2, v49
	v_fma_f32 v67, v18, 2.0, -v66
	v_sub_f32_e32 v18, v62, v21
	v_fma_f32 v33, v63, 2.0, -v32
	v_fma_f32 v15, v32, 2.0, -v14
	v_sub_f32_e32 v32, v64, v39
	v_sub_f32_e32 v58, v37, v58
	ds_write2_b32 v57, v16, v17 offset0:8 offset1:12
	v_and_or_b32 v16, v9, s2, v13
	s_movk_i32 s2, 0x7f0
	v_lshlrev_b32_e32 v7, 2, v47
	v_fma_f32 v20, v62, 2.0, -v18
	v_fma_f32 v19, v19, 2.0, -v45
	;; [unrolled: 1-line block ×4, first 2 shown]
	v_sub_f32_e32 v10, v43, v10
	v_fma_f32 v36, v37, 2.0, -v58
	v_lshl_add_u32 v62, v16, 2, 0
	v_and_or_b32 v16, v8, s2, v13
	s_movk_i32 s2, 0x9f0
	v_sub_f32_e32 v19, v20, v19
	v_add_f32_e32 v21, v18, v52
	v_sub_f32_e32 v34, v33, v34
	v_sub_f32_e32 v36, v35, v36
	v_add_f32_e32 v37, v32, v10
	v_and_or_b32 v13, v7, s2, v13
	v_fma_f32 v20, v20, 2.0, -v19
	v_fma_f32 v18, v18, 2.0, -v21
	;; [unrolled: 1-line block ×5, first 2 shown]
	v_lshl_add_u32 v63, v16, 2, 0
	v_lshl_add_u32 v13, v13, 2, 0
	ds_write2_b32 v62, v20, v18 offset1:4
	ds_write2_b32 v62, v19, v21 offset0:8 offset1:12
	ds_write2_b32 v63, v33, v15 offset1:4
	ds_write2_b32 v63, v34, v14 offset0:8 offset1:12
	;; [unrolled: 2-line block ×3, first 2 shown]
	s_waitcnt lgkmcnt(0)
	s_barrier
	ds_read2st64_b32 v[14:15], v24 offset1:10
	ds_read2st64_b32 v[16:17], v24 offset0:20 offset1:22
	ds_read2st64_b32 v[18:19], v24 offset0:28 offset1:30
	;; [unrolled: 1-line block ×3, first 2 shown]
	ds_read_b32 v64, v28
	ds_read_b32 v69, v29
	;; [unrolled: 1-line block ×4, first 2 shown]
	ds_read2st64_b32 v[32:33], v24 offset0:32 offset1:34
	ds_read2st64_b32 v[34:35], v24 offset0:24 offset1:26
	;; [unrolled: 1-line block ×4, first 2 shown]
	s_waitcnt lgkmcnt(0)
	s_barrier
	ds_write2_b32 v44, v65, v67 offset1:4
	ds_write2_b32 v44, v61, v66 offset0:8 offset1:12
	v_fma_f32 v44, v51, 2.0, -v68
	v_fma_f32 v51, v54, 2.0, -v52
	v_sub_f32_e32 v50, v11, v50
	v_sub_f32_e32 v54, v60, v55
	v_fma_f32 v11, v11, 2.0, -v50
	v_sub_f32_e32 v40, v12, v40
	v_sub_f32_e32 v41, v59, v41
	v_fma_f32 v55, v60, 2.0, -v54
	v_fma_f32 v10, v43, 2.0, -v10
	;; [unrolled: 1-line block ×3, first 2 shown]
	v_sub_f32_e32 v44, v11, v44
	v_sub_f32_e32 v22, v50, v22
	v_fma_f32 v12, v12, 2.0, -v40
	v_fma_f32 v52, v59, 2.0, -v41
	v_sub_f32_e32 v10, v55, v10
	v_fma_f32 v11, v11, 2.0, -v44
	v_fma_f32 v50, v50, 2.0, -v22
	v_sub_f32_e32 v51, v12, v51
	v_sub_f32_e32 v45, v40, v45
	;; [unrolled: 1-line block ×4, first 2 shown]
	v_fma_f32 v43, v55, 2.0, -v10
	v_sub_f32_e32 v55, v54, v58
	v_fma_f32 v12, v12, 2.0, -v51
	v_fma_f32 v40, v40, 2.0, -v45
	;; [unrolled: 1-line block ×5, first 2 shown]
	ds_write2_b32 v57, v11, v50 offset1:4
	ds_write2_b32 v57, v44, v22 offset0:8 offset1:12
	ds_write2_b32 v62, v12, v40 offset1:4
	ds_write2_b32 v62, v51, v45 offset0:8 offset1:12
	;; [unrolled: 2-line block ×4, first 2 shown]
	v_and_b32_e32 v22, 15, v0
	v_mul_u32_u24_e32 v10, 3, v22
	v_lshlrev_b32_e32 v42, 3, v10
	s_waitcnt lgkmcnt(0)
	s_barrier
	global_load_dwordx4 v[10:13], v42, s[12:13] offset:96
	global_load_dwordx2 v[40:41], v42, s[12:13] offset:112
	ds_read2st64_b32 v[42:43], v24 offset1:10
	ds_read2st64_b32 v[44:45], v24 offset0:20 offset1:22
	ds_read2st64_b32 v[50:51], v24 offset0:28 offset1:30
	ds_read2st64_b32 v[52:53], v24 offset0:12 offset1:14
	ds_read2st64_b32 v[54:55], v24 offset0:24 offset1:26
	ds_read2st64_b32 v[56:57], v24 offset0:16 offset1:18
	s_movk_i32 s2, 0x1c0
	v_and_or_b32 v6, v6, s2, v22
	s_movk_i32 s2, 0x3c0
	v_and_or_b32 v5, v5, s2, v22
	s_movk_i32 s2, 0x5c0
	s_waitcnt vmcnt(1) lgkmcnt(4)
	v_mul_f32_e32 v58, v44, v13
	v_fmac_f32_e32 v58, v16, v12
	v_mul_f32_e32 v16, v16, v13
	v_fma_f32 v16, v44, v12, -v16
	v_mul_f32_e32 v44, v45, v13
	v_fmac_f32_e32 v44, v17, v12
	v_mul_f32_e32 v17, v17, v13
	s_waitcnt lgkmcnt(2)
	v_mul_f32_e32 v59, v52, v11
	v_fma_f32 v17, v45, v12, -v17
	v_mul_f32_e32 v45, v53, v11
	v_fmac_f32_e32 v59, v20, v10
	v_mul_f32_e32 v20, v20, v11
	v_fmac_f32_e32 v45, v21, v10
	v_mul_f32_e32 v21, v21, v11
	v_fma_f32 v20, v52, v10, -v20
	v_fma_f32 v21, v53, v10, -v21
	s_waitcnt lgkmcnt(1)
	v_mul_f32_e32 v52, v54, v13
	v_mul_f32_e32 v53, v55, v13
	v_fmac_f32_e32 v52, v34, v12
	v_mul_f32_e32 v34, v34, v13
	v_fmac_f32_e32 v53, v35, v12
	v_mul_f32_e32 v35, v35, v13
	v_fma_f32 v34, v54, v12, -v34
	s_waitcnt lgkmcnt(0)
	v_mul_f32_e32 v54, v56, v11
	v_fma_f32 v35, v55, v12, -v35
	v_mul_f32_e32 v55, v57, v11
	v_fmac_f32_e32 v54, v36, v10
	v_mul_f32_e32 v36, v36, v11
	v_fmac_f32_e32 v55, v37, v10
	v_mul_f32_e32 v37, v37, v11
	v_mul_f32_e32 v60, v43, v11
	;; [unrolled: 1-line block ×3, first 2 shown]
	v_fmac_f32_e32 v60, v15, v10
	v_fma_f32 v36, v56, v10, -v36
	v_fma_f32 v37, v57, v10, -v37
	;; [unrolled: 1-line block ×3, first 2 shown]
	v_mul_f32_e32 v43, v50, v13
	v_mul_f32_e32 v10, v18, v13
	v_fmac_f32_e32 v43, v18, v12
	v_fma_f32 v18, v50, v12, -v10
	ds_read2st64_b32 v[10:11], v24 offset0:32 offset1:34
	s_waitcnt vmcnt(0)
	v_mul_f32_e32 v50, v51, v41
	v_mul_f32_e32 v12, v19, v41
	v_fmac_f32_e32 v50, v19, v40
	v_fma_f32 v19, v51, v40, -v12
	ds_read2st64_b32 v[12:13], v24 offset0:36 offset1:38
	s_waitcnt lgkmcnt(1)
	v_mul_f32_e32 v51, v10, v41
	v_mul_f32_e32 v56, v11, v41
	v_fmac_f32_e32 v51, v32, v40
	v_fmac_f32_e32 v56, v33, v40
	v_mul_f32_e32 v32, v32, v41
	v_mul_f32_e32 v33, v33, v41
	v_fma_f32 v10, v10, v40, -v32
	v_fma_f32 v11, v11, v40, -v33
	s_waitcnt lgkmcnt(0)
	v_mul_f32_e32 v32, v12, v41
	v_mul_f32_e32 v33, v13, v41
	v_fmac_f32_e32 v32, v38, v40
	v_fmac_f32_e32 v33, v39, v40
	v_mul_f32_e32 v38, v38, v41
	v_mul_f32_e32 v39, v39, v41
	v_sub_f32_e32 v16, v42, v16
	v_fma_f32 v12, v12, v40, -v38
	v_fma_f32 v13, v13, v40, -v39
	v_fma_f32 v39, v42, 2.0, -v16
	ds_read_b32 v40, v28
	ds_read_b32 v41, v29
	;; [unrolled: 1-line block ×4, first 2 shown]
	v_sub_f32_e32 v10, v20, v10
	s_waitcnt lgkmcnt(3)
	v_sub_f32_e32 v17, v40, v17
	v_sub_f32_e32 v44, v64, v44
	v_fma_f32 v40, v40, 2.0, -v17
	v_fma_f32 v20, v20, 2.0, -v10
	v_sub_f32_e32 v38, v14, v58
	v_sub_f32_e32 v50, v60, v50
	;; [unrolled: 1-line block ×3, first 2 shown]
	v_add_f32_e32 v10, v44, v10
	v_fma_f32 v14, v14, 2.0, -v38
	v_sub_f32_e32 v19, v15, v19
	v_fma_f32 v58, v60, 2.0, -v50
	v_fma_f32 v60, v64, 2.0, -v44
	v_fma_f32 v66, v40, 2.0, -v65
	v_fma_f32 v40, v44, 2.0, -v10
	v_sub_f32_e32 v44, v69, v52
	s_waitcnt lgkmcnt(2)
	v_sub_f32_e32 v34, v41, v34
	v_sub_f32_e32 v56, v45, v56
	;; [unrolled: 1-line block ×3, first 2 shown]
	v_fma_f32 v15, v15, 2.0, -v19
	v_sub_f32_e32 v58, v14, v58
	v_add_f32_e32 v19, v38, v19
	v_sub_f32_e32 v51, v59, v51
	v_fma_f32 v52, v69, 2.0, -v44
	v_fma_f32 v41, v41, 2.0, -v34
	;; [unrolled: 1-line block ×7, first 2 shown]
	v_sub_f32_e32 v45, v52, v45
	v_sub_f32_e32 v67, v41, v21
	v_add_f32_e32 v11, v44, v11
	v_lshl_add_u32 v69, v6, 2, 0
	v_sub_f32_e32 v59, v60, v59
	v_fma_f32 v21, v52, 2.0, -v45
	v_fma_f32 v52, v41, 2.0, -v67
	;; [unrolled: 1-line block ×3, first 2 shown]
	v_sub_f32_e32 v44, v70, v53
	v_sub_f32_e32 v32, v54, v32
	;; [unrolled: 1-line block ×4, first 2 shown]
	s_waitcnt lgkmcnt(0)
	s_barrier
	ds_write2_b32 v69, v14, v38 offset1:16
	ds_write2_b32 v69, v58, v19 offset0:32 offset1:48
	v_lshl_add_u32 v14, v5, 2, 0
	v_and_or_b32 v5, v9, s2, v22
	s_movk_i32 s2, 0x7c0
	v_fma_f32 v20, v60, 2.0, -v59
	v_sub_f32_e32 v35, v42, v35
	v_fma_f32 v53, v70, 2.0, -v44
	v_sub_f32_e32 v12, v36, v12
	;; [unrolled: 2-line block ×4, first 2 shown]
	v_fma_f32 v55, v55, 2.0, -v33
	v_lshl_add_u32 v9, v5, 2, 0
	v_and_or_b32 v5, v8, s2, v22
	s_movk_i32 s2, 0x9c0
	v_sub_f32_e32 v15, v39, v15
	v_sub_f32_e32 v50, v16, v50
	v_fma_f32 v42, v42, 2.0, -v35
	v_fma_f32 v36, v36, 2.0, -v12
	v_sub_f32_e32 v54, v53, v54
	v_add_f32_e32 v12, v44, v12
	v_fma_f32 v57, v57, 2.0, -v18
	v_fma_f32 v37, v37, 2.0, -v13
	v_sub_f32_e32 v55, v60, v55
	v_add_f32_e32 v13, v43, v13
	v_lshl_add_u32 v8, v5, 2, 0
	v_and_or_b32 v5, v7, s2, v22
	v_fma_f32 v39, v39, 2.0, -v15
	v_fma_f32 v16, v16, 2.0, -v50
	v_sub_f32_e32 v51, v17, v51
	v_sub_f32_e32 v56, v34, v56
	;; [unrolled: 1-line block ×3, first 2 shown]
	v_fma_f32 v53, v53, 2.0, -v54
	v_sub_f32_e32 v32, v35, v32
	v_fma_f32 v44, v44, 2.0, -v12
	v_sub_f32_e32 v37, v57, v37
	;; [unrolled: 2-line block ×3, first 2 shown]
	v_fma_f32 v43, v43, 2.0, -v13
	v_lshl_add_u32 v7, v5, 2, 0
	v_fma_f32 v17, v17, 2.0, -v51
	v_fma_f32 v34, v34, 2.0, -v56
	;; [unrolled: 1-line block ×6, first 2 shown]
	ds_write2_b32 v14, v20, v40 offset1:16
	ds_write2_b32 v14, v59, v10 offset0:32 offset1:48
	ds_write2_b32 v9, v21, v41 offset1:16
	ds_write2_b32 v9, v45, v11 offset0:32 offset1:48
	;; [unrolled: 2-line block ×4, first 2 shown]
	s_waitcnt lgkmcnt(0)
	s_barrier
	ds_read2st64_b32 v[5:6], v24 offset1:6
	ds_read2st64_b32 v[18:19], v24 offset0:10 offset1:12
	ds_read2st64_b32 v[20:21], v24 offset0:14 offset1:16
	;; [unrolled: 1-line block ×7, first 2 shown]
	ds_read_b32 v22, v31
	ds_read_b32 v43, v29
	;; [unrolled: 1-line block ×3, first 2 shown]
	ds_read_b32 v70, v24 offset:9728
	s_waitcnt lgkmcnt(0)
	s_barrier
	ds_write2_b32 v69, v39, v16 offset1:16
	ds_write2_b32 v69, v15, v50 offset0:32 offset1:48
	ds_write2_b32 v14, v66, v17 offset1:16
	ds_write2_b32 v14, v65, v51 offset0:32 offset1:48
	;; [unrolled: 2-line block ×5, first 2 shown]
	v_and_b32_e32 v9, 63, v0
	v_mul_u32_u24_e32 v7, 9, v9
	v_lshlrev_b32_e32 v7, 3, v7
	s_waitcnt lgkmcnt(0)
	s_barrier
	global_load_dwordx4 v[11:14], v7, s[12:13] offset:480
	global_load_dwordx4 v[32:35], v7, s[12:13] offset:496
	global_load_dwordx4 v[36:39], v7, s[12:13] offset:512
	global_load_dwordx4 v[55:58], v7, s[12:13] offset:528
	global_load_dwordx2 v[65:66], v7, s[12:13] offset:544
	ds_read_b32 v16, v29
	ds_read2st64_b32 v[7:8], v24 offset1:6
	ds_read_b32 v17, v31
	ds_read2st64_b32 v[51:52], v24 offset0:10 offset1:12
	ds_read_b32 v15, v28
	s_movk_i32 s2, 0x280
	s_waitcnt vmcnt(4)
	v_mul_f32_e32 v42, v43, v12
	s_waitcnt lgkmcnt(4)
	v_mul_f32_e32 v67, v16, v12
	v_fma_f32 v68, v16, v11, -v42
	v_mul_f32_e32 v16, v22, v14
	s_waitcnt lgkmcnt(2)
	v_fma_f32 v71, v17, v13, -v16
	v_mul_f32_e32 v16, v8, v12
	v_fmac_f32_e32 v16, v6, v11
	v_mul_f32_e32 v6, v6, v12
	v_mul_f32_e32 v69, v17, v14
	v_fma_f32 v17, v8, v11, -v6
	s_waitcnt lgkmcnt(1)
	v_mul_f32_e32 v50, v51, v14
	v_mul_f32_e32 v6, v18, v14
	v_fmac_f32_e32 v67, v43, v11
	v_fmac_f32_e32 v69, v22, v13
	;; [unrolled: 1-line block ×3, first 2 shown]
	v_fma_f32 v43, v51, v13, -v6
	ds_read2st64_b32 v[11:12], v24 offset0:14 offset1:16
	ds_read2st64_b32 v[13:14], v24 offset0:18 offset1:20
	s_waitcnt vmcnt(3)
	v_mul_f32_e32 v18, v21, v35
	v_mul_f32_e32 v6, v52, v33
	v_fmac_f32_e32 v6, v19, v32
	s_waitcnt lgkmcnt(1)
	v_mul_f32_e32 v72, v12, v35
	v_fma_f32 v73, v12, v34, -v18
	v_mul_f32_e32 v12, v20, v33
	v_mul_f32_e32 v8, v19, v33
	;; [unrolled: 1-line block ×3, first 2 shown]
	v_fma_f32 v18, v11, v32, -v12
	v_mul_f32_e32 v11, v40, v35
	v_fmac_f32_e32 v72, v21, v34
	s_waitcnt lgkmcnt(0)
	v_fma_f32 v51, v13, v34, -v11
	ds_read2st64_b32 v[11:12], v24 offset0:22 offset1:24
	ds_read2st64_b32 v[21:22], v24 offset0:26 offset1:28
	v_mul_f32_e32 v53, v13, v35
	s_waitcnt vmcnt(2)
	v_mul_f32_e32 v13, v41, v37
	v_fma_f32 v33, v14, v36, -v13
	v_mul_f32_e32 v13, v45, v39
	v_fma_f32 v8, v52, v32, -v8
	v_fmac_f32_e32 v19, v20, v32
	v_fmac_f32_e32 v53, v40, v34
	v_mul_f32_e32 v32, v14, v37
	s_waitcnt lgkmcnt(1)
	v_mul_f32_e32 v34, v12, v39
	v_fma_f32 v35, v12, v38, -v13
	v_mul_f32_e32 v12, v44, v37
	v_fmac_f32_e32 v32, v41, v36
	v_mul_f32_e32 v41, v11, v37
	v_fma_f32 v20, v11, v36, -v12
	v_mul_f32_e32 v11, v59, v39
	s_waitcnt lgkmcnt(0)
	v_fma_f32 v54, v21, v38, -v11
	ds_read2st64_b32 v[11:12], v24 offset0:30 offset1:32
	s_waitcnt vmcnt(1)
	v_mul_f32_e32 v13, v60, v56
	v_mul_f32_e32 v74, v21, v39
	;; [unrolled: 1-line block ×3, first 2 shown]
	v_fma_f32 v22, v22, v55, -v13
	ds_read2st64_b32 v[13:14], v24 offset0:34 offset1:36
	v_fmac_f32_e32 v34, v45, v38
	v_fmac_f32_e32 v74, v59, v38
	v_mul_f32_e32 v38, v61, v56
	v_fmac_f32_e32 v41, v44, v36
	s_waitcnt lgkmcnt(1)
	v_mul_f32_e32 v44, v11, v56
	v_fma_f32 v42, v11, v55, -v38
	v_mul_f32_e32 v11, v63, v58
	s_waitcnt lgkmcnt(0)
	v_fma_f32 v56, v13, v57, -v11
	ds_read_b32 v11, v24 offset:9728
	v_mul_f32_e32 v37, v62, v58
	v_mul_f32_e32 v36, v12, v58
	v_fma_f32 v12, v12, v57, -v37
	s_waitcnt vmcnt(0)
	v_mul_f32_e32 v37, v64, v66
	v_fmac_f32_e32 v21, v60, v55
	v_fmac_f32_e32 v44, v61, v55
	v_mul_f32_e32 v55, v13, v58
	v_mul_f32_e32 v13, v14, v66
	v_fma_f32 v14, v14, v65, -v37
	v_mul_f32_e32 v37, v70, v66
	v_fmac_f32_e32 v36, v62, v57
	s_waitcnt lgkmcnt(0)
	v_mul_f32_e32 v52, v11, v66
	v_fma_f32 v45, v11, v65, -v37
	v_add_f32_e32 v11, v72, v34
	v_fma_f32 v37, -0.5, v11, v5
	v_sub_f32_e32 v11, v69, v72
	v_sub_f32_e32 v38, v36, v34
	v_add_f32_e32 v11, v11, v38
	v_sub_f32_e32 v38, v71, v12
	v_mov_b32_e32 v39, v37
	v_fmac_f32_e32 v39, 0xbf737871, v38
	v_sub_f32_e32 v40, v73, v35
	v_fmac_f32_e32 v37, 0x3f737871, v38
	v_fmac_f32_e32 v55, v63, v57
	;; [unrolled: 1-line block ×4, first 2 shown]
	v_add_f32_e32 v57, v69, v36
	v_fmac_f32_e32 v39, 0x3e9e377a, v11
	v_fmac_f32_e32 v37, 0x3e9e377a, v11
	v_add_f32_e32 v11, v5, v69
	v_fmac_f32_e32 v5, -0.5, v57
	v_mov_b32_e32 v60, v5
	v_fmac_f32_e32 v60, 0x3f737871, v40
	v_fmac_f32_e32 v5, 0xbf737871, v40
	;; [unrolled: 1-line block ×4, first 2 shown]
	v_sub_f32_e32 v38, v71, v73
	v_sub_f32_e32 v40, v12, v35
	;; [unrolled: 1-line block ×4, first 2 shown]
	v_add_f32_e32 v11, v11, v72
	v_add_f32_e32 v38, v38, v40
	;; [unrolled: 1-line block ×5, first 2 shown]
	v_fma_f32 v40, -0.5, v40, v7
	v_fmac_f32_e32 v60, 0x3e9e377a, v57
	v_fmac_f32_e32 v5, 0x3e9e377a, v57
	v_add_f32_e32 v11, v11, v36
	v_sub_f32_e32 v36, v69, v36
	v_mov_b32_e32 v57, v40
	v_sub_f32_e32 v34, v72, v34
	v_fmac_f32_e32 v57, 0x3f737871, v36
	v_fmac_f32_e32 v40, 0xbf737871, v36
	;; [unrolled: 1-line block ×6, first 2 shown]
	v_add_f32_e32 v38, v7, v71
	v_add_f32_e32 v58, v71, v12
	v_fmac_f32_e32 v7, -0.5, v58
	v_add_f32_e32 v38, v38, v73
	v_add_f32_e32 v38, v38, v35
	v_mov_b32_e32 v61, v7
	v_sub_f32_e32 v58, v73, v71
	v_add_f32_e32 v38, v38, v12
	v_sub_f32_e32 v12, v35, v12
	v_fmac_f32_e32 v61, 0xbf737871, v34
	v_fmac_f32_e32 v7, 0x3f737871, v34
	v_add_f32_e32 v12, v58, v12
	v_fmac_f32_e32 v61, 0x3f167918, v36
	v_fmac_f32_e32 v7, 0xbf167918, v36
	v_fmac_f32_e32 v13, v64, v65
	v_fmac_f32_e32 v61, 0x3e9e377a, v12
	v_fmac_f32_e32 v7, 0x3e9e377a, v12
	v_add_f32_e32 v12, v32, v21
	v_fma_f32 v12, -0.5, v12, v67
	v_sub_f32_e32 v34, v6, v32
	v_sub_f32_e32 v35, v13, v21
	v_add_f32_e32 v34, v34, v35
	v_sub_f32_e32 v35, v8, v14
	v_mov_b32_e32 v36, v12
	v_fmac_f32_e32 v36, 0xbf737871, v35
	v_sub_f32_e32 v58, v33, v22
	v_fmac_f32_e32 v12, 0x3f737871, v35
	v_fmac_f32_e32 v36, 0xbf167918, v58
	;; [unrolled: 1-line block ×5, first 2 shown]
	v_add_f32_e32 v34, v67, v6
	v_add_f32_e32 v34, v34, v32
	;; [unrolled: 1-line block ×4, first 2 shown]
	v_fmac_f32_e32 v67, -0.5, v59
	v_sub_f32_e32 v59, v32, v6
	v_sub_f32_e32 v62, v21, v13
	v_add_f32_e32 v34, v34, v13
	v_sub_f32_e32 v6, v6, v13
	v_sub_f32_e32 v13, v32, v21
	;; [unrolled: 1-line block ×4, first 2 shown]
	v_add_f32_e32 v59, v59, v62
	v_mov_b32_e32 v62, v67
	v_add_f32_e32 v21, v21, v32
	v_add_f32_e32 v32, v33, v22
	v_fmac_f32_e32 v62, 0x3f737871, v58
	v_fmac_f32_e32 v67, 0xbf737871, v58
	v_fma_f32 v32, -0.5, v32, v68
	v_fmac_f32_e32 v62, 0xbf167918, v35
	v_fmac_f32_e32 v67, 0x3f167918, v35
	v_mov_b32_e32 v35, v32
	v_fmac_f32_e32 v35, 0x3f737871, v6
	v_fmac_f32_e32 v32, 0xbf737871, v6
	v_fmac_f32_e32 v35, 0x3f167918, v13
	v_fmac_f32_e32 v32, 0xbf167918, v13
	v_fmac_f32_e32 v35, 0x3e9e377a, v21
	v_fmac_f32_e32 v32, 0x3e9e377a, v21
	v_add_f32_e32 v21, v68, v8
	v_add_f32_e32 v21, v21, v33
	;; [unrolled: 1-line block ×4, first 2 shown]
	v_fmac_f32_e32 v68, -0.5, v58
	v_sub_f32_e32 v8, v33, v8
	v_add_f32_e32 v63, v21, v14
	v_sub_f32_e32 v14, v22, v14
	v_add_f32_e32 v8, v8, v14
	v_mov_b32_e32 v14, v68
	v_fmac_f32_e32 v14, 0xbf737871, v13
	v_fmac_f32_e32 v14, 0x3f167918, v6
	;; [unrolled: 1-line block ×8, first 2 shown]
	v_mul_f32_e32 v33, 0xbf737871, v14
	v_mul_f32_e32 v65, 0x3e9e377a, v14
	v_fmac_f32_e32 v67, 0x3e9e377a, v59
	v_mul_f32_e32 v13, 0xbf167918, v35
	v_fmac_f32_e32 v33, 0x3e9e377a, v62
	v_fmac_f32_e32 v65, 0x3f737871, v62
	v_mul_f32_e32 v62, 0xbe9e377a, v68
	v_fmac_f32_e32 v13, 0x3f4f1bbd, v36
	v_mul_f32_e32 v64, 0x3f4f1bbd, v35
	;; [unrolled: 2-line block ×3, first 2 shown]
	v_mul_f32_e32 v66, 0xbf4f1bbd, v32
	v_add_f32_e32 v21, v11, v34
	v_mul_f32_e32 v6, 0xbf737871, v68
	v_add_f32_e32 v59, v39, v13
	v_fmac_f32_e32 v64, 0x3f167918, v36
	v_fmac_f32_e32 v14, 0xbf4f1bbd, v12
	;; [unrolled: 1-line block ×3, first 2 shown]
	v_sub_f32_e32 v11, v11, v34
	v_sub_f32_e32 v12, v39, v13
	v_add_f32_e32 v34, v7, v62
	v_sub_f32_e32 v39, v7, v62
	v_add_f32_e32 v7, v53, v74
	v_fmac_f32_e32 v6, 0xbe9e377a, v67
	v_add_f32_e32 v8, v37, v14
	v_add_f32_e32 v32, v57, v64
	v_sub_f32_e32 v14, v37, v14
	v_sub_f32_e32 v37, v57, v64
	v_fma_f32 v57, -0.5, v7, v10
	v_add_f32_e32 v22, v5, v6
	v_sub_f32_e32 v5, v5, v6
	v_add_f32_e32 v58, v60, v33
	v_add_f32_e32 v6, v38, v63
	v_sub_f32_e32 v13, v60, v33
	v_add_f32_e32 v33, v61, v65
	v_sub_f32_e32 v35, v38, v63
	v_sub_f32_e32 v38, v61, v65
	;; [unrolled: 1-line block ×3, first 2 shown]
	v_mov_b32_e32 v60, v57
	v_sub_f32_e32 v61, v50, v53
	v_sub_f32_e32 v62, v55, v74
	v_fmac_f32_e32 v60, 0xbf737871, v7
	v_add_f32_e32 v61, v61, v62
	v_sub_f32_e32 v62, v51, v54
	v_fmac_f32_e32 v57, 0x3f737871, v7
	v_fmac_f32_e32 v60, 0xbf167918, v62
	;; [unrolled: 1-line block ×3, first 2 shown]
	v_add_f32_e32 v63, v50, v55
	v_fmac_f32_e32 v60, 0x3e9e377a, v61
	v_fmac_f32_e32 v57, 0x3e9e377a, v61
	v_add_f32_e32 v61, v10, v50
	v_fmac_f32_e32 v10, -0.5, v63
	v_sub_f32_e32 v63, v53, v50
	v_sub_f32_e32 v64, v74, v55
	v_add_f32_e32 v63, v63, v64
	v_mov_b32_e32 v64, v10
	v_fmac_f32_e32 v64, 0x3f737871, v62
	v_fmac_f32_e32 v10, 0xbf737871, v62
	;; [unrolled: 1-line block ×4, first 2 shown]
	v_add_f32_e32 v7, v61, v53
	v_add_f32_e32 v7, v7, v74
	;; [unrolled: 1-line block ×4, first 2 shown]
	v_fma_f32 v62, -0.5, v7, v15
	v_fmac_f32_e32 v64, 0x3e9e377a, v63
	v_fmac_f32_e32 v10, 0x3e9e377a, v63
	v_sub_f32_e32 v7, v50, v55
	v_mov_b32_e32 v63, v62
	v_sub_f32_e32 v50, v53, v74
	v_sub_f32_e32 v53, v43, v51
	v_sub_f32_e32 v55, v56, v54
	v_fmac_f32_e32 v63, 0x3f737871, v7
	v_fmac_f32_e32 v62, 0xbf737871, v7
	v_add_f32_e32 v53, v53, v55
	v_fmac_f32_e32 v63, 0x3f167918, v50
	v_fmac_f32_e32 v62, 0xbf167918, v50
	v_add_f32_e32 v55, v43, v56
	;; [unrolled: 3-line block ×3, first 2 shown]
	v_fmac_f32_e32 v15, -0.5, v55
	v_mov_b32_e32 v65, v15
	v_add_f32_e32 v53, v53, v51
	v_sub_f32_e32 v43, v51, v43
	v_fmac_f32_e32 v65, 0xbf737871, v50
	v_sub_f32_e32 v51, v54, v56
	v_fmac_f32_e32 v15, 0x3f737871, v50
	v_fmac_f32_e32 v65, 0x3f167918, v7
	v_add_f32_e32 v43, v43, v51
	v_fmac_f32_e32 v15, 0xbf167918, v7
	v_add_f32_e32 v7, v41, v44
	v_fmac_f32_e32 v65, 0x3e9e377a, v43
	v_fmac_f32_e32 v15, 0x3e9e377a, v43
	v_fma_f32 v43, -0.5, v7, v16
	v_add_f32_e32 v53, v53, v54
	v_sub_f32_e32 v7, v18, v45
	v_mov_b32_e32 v50, v43
	v_sub_f32_e32 v51, v19, v41
	v_sub_f32_e32 v54, v52, v44
	v_fmac_f32_e32 v50, 0xbf737871, v7
	v_add_f32_e32 v51, v51, v54
	v_sub_f32_e32 v54, v20, v42
	v_fmac_f32_e32 v43, 0x3f737871, v7
	v_fmac_f32_e32 v50, 0xbf167918, v54
	;; [unrolled: 1-line block ×3, first 2 shown]
	v_add_f32_e32 v55, v19, v52
	v_add_f32_e32 v53, v53, v56
	v_fmac_f32_e32 v50, 0x3e9e377a, v51
	v_fmac_f32_e32 v43, 0x3e9e377a, v51
	v_add_f32_e32 v51, v16, v19
	v_fmac_f32_e32 v16, -0.5, v55
	v_sub_f32_e32 v55, v41, v19
	v_sub_f32_e32 v56, v44, v52
	v_add_f32_e32 v55, v55, v56
	v_mov_b32_e32 v56, v16
	v_fmac_f32_e32 v56, 0x3f737871, v54
	v_fmac_f32_e32 v16, 0xbf737871, v54
	;; [unrolled: 1-line block ×4, first 2 shown]
	v_add_f32_e32 v7, v51, v41
	v_add_f32_e32 v7, v7, v44
	;; [unrolled: 1-line block ×4, first 2 shown]
	v_fma_f32 v54, -0.5, v7, v17
	v_sub_f32_e32 v7, v19, v52
	v_sub_f32_e32 v19, v41, v44
	;; [unrolled: 1-line block ×4, first 2 shown]
	v_add_f32_e32 v41, v41, v44
	v_mov_b32_e32 v44, v54
	v_fmac_f32_e32 v44, 0x3f737871, v7
	v_fmac_f32_e32 v54, 0xbf737871, v7
	;; [unrolled: 1-line block ×6, first 2 shown]
	v_add_f32_e32 v41, v17, v18
	v_add_f32_e32 v52, v18, v45
	;; [unrolled: 1-line block ×3, first 2 shown]
	v_fmac_f32_e32 v17, -0.5, v52
	v_add_f32_e32 v41, v41, v42
	v_add_f32_e32 v52, v41, v45
	v_sub_f32_e32 v18, v20, v18
	v_mov_b32_e32 v20, v17
	v_sub_f32_e32 v41, v42, v45
	v_fmac_f32_e32 v17, 0x3f737871, v19
	v_add_f32_e32 v18, v18, v41
	v_fmac_f32_e32 v17, 0xbf167918, v7
	v_add_f32_e32 v36, v40, v66
	v_sub_f32_e32 v40, v40, v66
	v_fmac_f32_e32 v20, 0xbf737871, v19
	v_fmac_f32_e32 v17, 0x3e9e377a, v18
	v_mul_f32_e32 v42, 0xbf167918, v44
	v_mul_f32_e32 v66, 0x3f4f1bbd, v44
	v_fmac_f32_e32 v16, 0x3e9e377a, v55
	v_fmac_f32_e32 v20, 0x3f167918, v7
	;; [unrolled: 1-line block ×4, first 2 shown]
	v_mul_f32_e32 v44, 0xbf737871, v17
	v_mul_f32_e32 v68, 0xbe9e377a, v17
	;; [unrolled: 1-line block ×3, first 2 shown]
	v_fmac_f32_e32 v20, 0x3e9e377a, v18
	v_fmac_f32_e32 v44, 0xbe9e377a, v16
	;; [unrolled: 1-line block ×4, first 2 shown]
	v_mul_f32_e32 v45, 0xbf737871, v20
	v_mul_f32_e32 v67, 0x3e9e377a, v20
	v_add_f32_e32 v20, v10, v44
	v_add_f32_e32 v16, v57, v50
	;; [unrolled: 1-line block ×3, first 2 shown]
	v_sub_f32_e32 v10, v10, v44
	v_add_f32_e32 v44, v15, v68
	v_sub_f32_e32 v57, v57, v50
	v_sub_f32_e32 v50, v53, v52
	;; [unrolled: 1-line block ×3, first 2 shown]
	v_lshrrev_b32_e32 v15, 6, v0
	v_mul_u32_u24_e32 v15, 0x280, v15
	v_or_b32_e32 v15, v15, v9
	v_fmac_f32_e32 v56, 0x3e9e377a, v55
	v_add_f32_e32 v18, v60, v42
	v_sub_f32_e32 v55, v60, v42
	v_lshl_add_u32 v60, v15, 2, 0
	v_lshrrev_b32_e32 v15, 6, v46
	v_mul_lo_u32 v15, v15, s2
	v_fmac_f32_e32 v45, 0x3e9e377a, v56
	s_barrier
	ds_write2st64_b32 v60, v21, v59 offset1:1
	ds_write2st64_b32 v60, v58, v22 offset0:2 offset1:3
	ds_write2st64_b32 v60, v8, v11 offset0:4 offset1:5
	;; [unrolled: 1-line block ×4, first 2 shown]
	v_or_b32_e32 v5, v15, v9
	v_add_f32_e32 v7, v61, v51
	v_add_f32_e32 v19, v64, v45
	v_sub_f32_e32 v17, v61, v51
	v_lshl_add_u32 v5, v5, 2, 0
	v_fmac_f32_e32 v67, 0x3f737871, v56
	v_sub_f32_e32 v56, v64, v45
	ds_write2st64_b32 v5, v7, v18 offset1:1
	ds_write2st64_b32 v5, v19, v20 offset0:2 offset1:3
	ds_write2st64_b32 v5, v16, v17 offset0:4 offset1:5
	;; [unrolled: 1-line block ×4, first 2 shown]
	s_waitcnt lgkmcnt(0)
	s_barrier
	ds_read2st64_b32 v[7:8], v24 offset1:10
	ds_read2st64_b32 v[11:12], v24 offset0:20 offset1:22
	ds_read2st64_b32 v[9:10], v24 offset0:28 offset1:30
	;; [unrolled: 1-line block ×7, first 2 shown]
	ds_read_b32 v28, v28
	ds_read_b32 v29, v29
	;; [unrolled: 1-line block ×4, first 2 shown]
	v_mul_f32_e32 v54, 0xbf4f1bbd, v54
	v_fmac_f32_e32 v54, 0x3f167918, v43
	v_add_f32_e32 v42, v63, v66
	v_add_f32_e32 v43, v65, v67
	;; [unrolled: 1-line block ×3, first 2 shown]
	v_sub_f32_e32 v51, v63, v66
	v_sub_f32_e32 v52, v65, v67
	v_sub_f32_e32 v54, v62, v54
	s_waitcnt lgkmcnt(0)
	s_barrier
	ds_write2st64_b32 v60, v6, v32 offset1:1
	ds_write2st64_b32 v60, v33, v34 offset0:2 offset1:3
	ds_write2st64_b32 v60, v36, v35 offset0:4 offset1:5
	;; [unrolled: 1-line block ×4, first 2 shown]
	ds_write2st64_b32 v5, v41, v42 offset1:1
	ds_write2st64_b32 v5, v43, v44 offset0:2 offset1:3
	ds_write2st64_b32 v5, v45, v50 offset0:4 offset1:5
	;; [unrolled: 1-line block ×4, first 2 shown]
	s_waitcnt lgkmcnt(0)
	s_barrier
	s_and_saveexec_b64 s[2:3], vcc
	s_cbranch_execz .LBB0_15
; %bb.14:
	v_mul_i32_i24_e32 v5, 3, v47
	v_mov_b32_e32 v6, 0
	v_lshlrev_b64 v[32:33], 3, v[5:6]
	v_mov_b32_e32 v65, s13
	v_add_co_u32_e32 v5, vcc, s12, v32
	v_addc_co_u32_e32 v37, vcc, v65, v33, vcc
	s_movk_i32 s2, 0x1000
	v_add_co_u32_e32 v32, vcc, s2, v5
	s_movk_i32 s3, 0x13e0
	v_addc_co_u32_e32 v33, vcc, 0, v37, vcc
	v_add_co_u32_e32 v36, vcc, s3, v5
	v_addc_co_u32_e32 v37, vcc, 0, v37, vcc
	global_load_dwordx4 v[32:35], v[32:33], off offset:992
	v_mul_i32_i24_e32 v5, 3, v49
	global_load_dwordx2 v[44:45], v[36:37], off offset:16
	v_lshlrev_b64 v[36:37], 3, v[5:6]
	v_mul_i32_i24_e32 v61, -12, v49
	v_add_co_u32_e32 v5, vcc, s12, v36
	v_addc_co_u32_e32 v41, vcc, v65, v37, vcc
	v_add_co_u32_e32 v36, vcc, s2, v5
	v_addc_co_u32_e32 v37, vcc, 0, v41, vcc
	global_load_dwordx4 v[36:39], v[36:37], off offset:992
	v_add_co_u32_e32 v40, vcc, s3, v5
	v_addc_co_u32_e32 v41, vcc, 0, v41, vcc
	global_load_dwordx2 v[49:50], v[40:41], off offset:16
	v_mul_i32_i24_e32 v5, -12, v47
	v_add_u32_e32 v5, v27, v5
	ds_read2st64_b32 v[51:52], v24 offset0:28 offset1:30
	ds_read2st64_b32 v[53:54], v24 offset0:16 offset1:18
	;; [unrolled: 1-line block ×3, first 2 shown]
	ds_read_b32 v27, v5
	v_mul_i32_i24_e32 v5, 3, v48
	v_lshlrev_b64 v[40:41], 3, v[5:6]
	v_mul_lo_u32 v42, s1, v3
	v_add_co_u32_e32 v5, vcc, s12, v40
	v_addc_co_u32_e32 v40, vcc, v65, v41, vcc
	v_mul_lo_u32 v43, s0, v4
	v_mad_u64_u32 v[3:4], s[0:1], s0, v3, 0
	v_add_co_u32_e32 v47, vcc, s3, v5
	v_mul_i32_i24_e32 v67, -12, v48
	v_addc_co_u32_e32 v48, vcc, 0, v40, vcc
	v_add_co_u32_e32 v57, vcc, s2, v5
	v_addc_co_u32_e32 v58, vcc, 0, v40, vcc
	v_add3_u32 v4, v4, v43, v42
	global_load_dwordx4 v[40:43], v[57:58], off offset:992
	global_load_dwordx2 v[59:60], v[47:48], off offset:16
	v_mul_i32_i24_e32 v72, -12, v46
	s_mov_b32 s0, 0xcccccccd
	v_lshlrev_b64 v[3:4], 3, v[3:4]
	v_lshlrev_b64 v[1:2], 3, v[1:2]
	s_movk_i32 s1, 0x2000
	s_waitcnt vmcnt(5)
	v_mul_f32_e32 v5, v9, v35
	s_waitcnt lgkmcnt(2)
	v_mul_f32_e32 v58, v33, v54
	s_waitcnt vmcnt(4) lgkmcnt(1)
	v_mul_f32_e32 v47, v45, v56
	v_mul_f32_e32 v35, v51, v35
	;; [unrolled: 1-line block ×4, first 2 shown]
	v_fma_f32 v5, v34, v51, -v5
	v_fmac_f32_e32 v47, v20, v44
	v_fmac_f32_e32 v35, v9, v34
	v_fma_f32 v9, v32, v54, -v33
	v_fma_f32 v20, v44, v56, -v45
	s_waitcnt lgkmcnt(0)
	v_sub_f32_e32 v5, v27, v5
	v_sub_f32_e32 v20, v9, v20
	v_fma_f32 v33, v27, 2.0, -v5
	v_fma_f32 v9, v9, 2.0, -v20
	v_fmac_f32_e32 v58, v22, v32
	v_sub_f32_e32 v27, v33, v9
	v_add_u32_e32 v9, v26, v61
	v_sub_f32_e32 v22, v58, v47
	ds_read2st64_b32 v[61:62], v24 offset0:24 offset1:26
	ds_read_b32 v9, v9
	v_sub_f32_e32 v32, v31, v35
	v_sub_f32_e32 v45, v5, v22
	v_add_f32_e32 v44, v32, v20
	v_fma_f32 v20, v31, 2.0, -v32
	v_fma_f32 v48, v5, 2.0, -v45
	;; [unrolled: 1-line block ×3, first 2 shown]
	v_sub_f32_e32 v26, v20, v5
	s_waitcnt vmcnt(3)
	v_mul_f32_e32 v5, v18, v39
	s_waitcnt lgkmcnt(1)
	v_fma_f32 v5, v38, v62, -v5
	s_waitcnt lgkmcnt(0)
	v_sub_f32_e32 v22, v9, v5
	v_mul_i32_i24_e32 v5, 3, v46
	v_fma_f32 v47, v32, 2.0, -v44
	v_lshlrev_b64 v[31:32], 3, v[5:6]
	v_fma_f32 v56, v20, 2.0, -v26
	v_add_co_u32_e32 v5, vcc, s12, v31
	v_addc_co_u32_e32 v20, vcc, v65, v32, vcc
	v_add_co_u32_e32 v31, vcc, s2, v5
	v_addc_co_u32_e32 v32, vcc, 0, v20, vcc
	;; [unrolled: 2-line block ×3, first 2 shown]
	v_mul_f32_e32 v20, v62, v39
	v_fmac_f32_e32 v20, v18, v38
	v_mul_f32_e32 v18, v21, v37
	v_mul_f32_e32 v58, v37, v53
	v_fma_f32 v37, v36, v53, -v18
	s_waitcnt vmcnt(2)
	v_mul_f32_e32 v18, v19, v50
	v_fma_f32 v18, v49, v55, -v18
	v_fma_f32 v57, v33, 2.0, -v27
	global_load_dwordx4 v[31:34], v[31:32], off offset:992
	v_sub_f32_e32 v38, v37, v18
	global_load_dwordx2 v[63:64], v[63:64], off offset:16
	v_mul_u32_u24_e32 v18, 3, v0
	v_lshlrev_b32_e32 v18, 3, v18
	v_add_co_u32_e32 v35, vcc, s12, v18
	v_fmac_f32_e32 v58, v21, v36
	v_addc_co_u32_e32 v36, vcc, 0, v65, vcc
	v_mul_f32_e32 v5, v50, v55
	v_add_co_u32_e32 v18, vcc, s2, v35
	v_fmac_f32_e32 v5, v19, v49
	v_addc_co_u32_e32 v19, vcc, 0, v36, vcc
	v_add_co_u32_e32 v35, vcc, s3, v35
	v_sub_f32_e32 v39, v30, v20
	global_load_dwordx4 v[18:21], v[18:19], off offset:992
	v_addc_co_u32_e32 v36, vcc, 0, v36, vcc
	global_load_dwordx2 v[35:36], v[35:36], off offset:16
	v_sub_f32_e32 v5, v58, v5
	v_sub_f32_e32 v51, v22, v5
	v_fma_f32 v54, v22, 2.0, -v51
	v_fma_f32 v9, v9, 2.0, -v22
	;; [unrolled: 1-line block ×3, first 2 shown]
	v_add_f32_e32 v50, v39, v38
	v_sub_f32_e32 v38, v9, v22
	v_fma_f32 v66, v9, 2.0, -v38
	v_fma_f32 v9, v30, 2.0, -v39
	;; [unrolled: 1-line block ×3, first 2 shown]
	v_sub_f32_e32 v37, v9, v5
	v_add_u32_e32 v5, v25, v67
	ds_read_b32 v5, v5
	ds_read2st64_b32 v[67:68], v24 offset0:12 offset1:14
	ds_read2st64_b32 v[69:70], v24 offset0:32 offset1:34
	v_fma_f32 v65, v9, 2.0, -v37
	s_waitcnt vmcnt(5)
	v_mul_f32_e32 v9, v17, v43
	v_fma_f32 v9, v42, v61, -v9
	s_waitcnt lgkmcnt(1)
	v_mul_f32_e32 v22, v41, v68
	s_waitcnt vmcnt(4) lgkmcnt(0)
	v_mul_f32_e32 v25, v60, v70
	v_fmac_f32_e32 v22, v16, v40
	v_fmac_f32_e32 v25, v14, v59
	v_mul_f32_e32 v16, v16, v41
	v_mul_f32_e32 v14, v14, v60
	v_sub_f32_e32 v9, v5, v9
	v_sub_f32_e32 v25, v22, v25
	v_mul_f32_e32 v30, v61, v43
	v_fma_f32 v16, v40, v68, -v16
	v_fma_f32 v14, v59, v70, -v14
	v_sub_f32_e32 v62, v9, v25
	v_fmac_f32_e32 v30, v17, v42
	v_sub_f32_e32 v14, v16, v14
	v_fma_f32 v53, v39, 2.0, -v50
	v_fma_f32 v71, v9, 2.0, -v62
	v_sub_f32_e32 v39, v29, v30
	v_fma_f32 v5, v5, 2.0, -v9
	v_fma_f32 v9, v16, 2.0, -v14
	v_add_f32_e32 v61, v39, v14
	v_sub_f32_e32 v17, v5, v9
	v_fma_f32 v9, v22, 2.0, -v25
	v_add_u32_e32 v14, v23, v72
	ds_read2st64_b32 v[22:23], v24 offset0:20 offset1:22
	ds_read_b32 v25, v14
	v_fma_f32 v30, v5, 2.0, -v17
	v_fma_f32 v5, v29, 2.0, -v39
	v_sub_f32_e32 v16, v5, v9
	v_fma_f32 v29, v5, 2.0, -v16
	v_fma_f32 v70, v39, 2.0, -v61
	v_add_co_u32_e32 v3, vcc, s10, v3
	s_waitcnt vmcnt(3)
	v_mul_f32_e32 v5, v12, v34
	v_mul_f32_e32 v9, v32, v67
	s_waitcnt vmcnt(2)
	v_mul_f32_e32 v14, v64, v69
	s_waitcnt lgkmcnt(1)
	v_fma_f32 v5, v33, v23, -v5
	v_fmac_f32_e32 v9, v15, v31
	v_fmac_f32_e32 v14, v13, v63
	v_mul_f32_e32 v23, v23, v34
	v_mul_f32_e32 v15, v15, v32
	;; [unrolled: 1-line block ×3, first 2 shown]
	s_waitcnt lgkmcnt(0)
	v_sub_f32_e32 v5, v25, v5
	v_sub_f32_e32 v41, v9, v14
	v_fmac_f32_e32 v23, v12, v33
	v_fma_f32 v15, v31, v67, -v15
	v_fma_f32 v13, v63, v69, -v13
	ds_read2st64_b32 v[33:34], v24 offset1:10
	v_sub_f32_e32 v14, v5, v41
	v_sub_f32_e32 v12, v28, v23
	;; [unrolled: 1-line block ×3, first 2 shown]
	v_fma_f32 v40, v5, 2.0, -v14
	v_fma_f32 v5, v25, 2.0, -v5
	;; [unrolled: 1-line block ×3, first 2 shown]
	v_sub_f32_e32 v25, v5, v15
	v_fma_f32 v32, v5, 2.0, -v25
	v_fma_f32 v5, v28, 2.0, -v12
	;; [unrolled: 1-line block ×3, first 2 shown]
	v_sub_f32_e32 v24, v5, v9
	s_waitcnt vmcnt(1) lgkmcnt(0)
	v_mul_f32_e32 v15, v19, v34
	v_fma_f32 v31, v5, 2.0, -v24
	v_mul_f32_e32 v5, v11, v21
	v_fmac_f32_e32 v15, v8, v18
	s_waitcnt vmcnt(0)
	v_mul_f32_e32 v9, v36, v52
	v_mul_f32_e32 v8, v8, v19
	v_fma_f32 v5, v20, v22, -v5
	v_fmac_f32_e32 v9, v10, v35
	v_mul_f32_e32 v21, v22, v21
	v_fma_f32 v18, v18, v34, -v8
	v_mul_f32_e32 v8, v10, v36
	v_add_f32_e32 v13, v12, v23
	v_sub_f32_e32 v5, v33, v5
	v_sub_f32_e32 v23, v15, v9
	v_fmac_f32_e32 v21, v11, v20
	v_fma_f32 v8, v35, v52, -v8
	v_sub_f32_e32 v9, v5, v23
	v_sub_f32_e32 v20, v7, v21
	;; [unrolled: 1-line block ×3, first 2 shown]
	v_fma_f32 v39, v12, 2.0, -v13
	v_fma_f32 v12, v5, 2.0, -v9
	v_add_f32_e32 v8, v20, v10
	v_fma_f32 v5, v33, 2.0, -v5
	v_fma_f32 v10, v18, 2.0, -v10
	v_sub_f32_e32 v19, v5, v10
	v_fma_f32 v21, v5, 2.0, -v19
	v_fma_f32 v5, v7, 2.0, -v20
	v_mul_hi_u32 v7, v0, s0
	v_fma_f32 v10, v15, 2.0, -v23
	v_sub_f32_e32 v18, v5, v10
	v_fma_f32 v11, v20, 2.0, -v8
	v_fma_f32 v20, v5, 2.0, -v18
	v_lshrrev_b32_e32 v5, 9, v7
	v_mov_b32_e32 v7, s11
	v_mul_u32_u24_e32 v5, 0x280, v5
	v_addc_co_u32_e32 v4, vcc, v7, v4, vcc
	v_sub_u32_e32 v5, v0, v5
	v_add_co_u32_e32 v7, vcc, v3, v1
	v_addc_co_u32_e32 v10, vcc, v4, v2, vcc
	v_lshlrev_b32_e32 v1, 3, v5
	v_add_co_u32_e32 v1, vcc, v7, v1
	v_addc_co_u32_e32 v2, vcc, 0, v10, vcc
	v_add_co_u32_e32 v3, vcc, s2, v1
	v_addc_co_u32_e32 v4, vcc, 0, v2, vcc
	global_store_dwordx2 v[3:4], v[11:12], off offset:1024
	v_add_co_u32_e32 v3, vcc, s1, v1
	v_addc_co_u32_e32 v4, vcc, 0, v2, vcc
	global_store_dwordx2 v[3:4], v[18:19], off offset:2048
	v_add_u32_e32 v3, 0x80, v0
	v_mul_hi_u32 v4, v3, s0
	s_movk_i32 s1, 0x3000
	global_store_dwordx2 v[1:2], v[20:21], off
	v_add_co_u32_e32 v1, vcc, s1, v1
	v_addc_co_u32_e32 v2, vcc, 0, v2, vcc
	global_store_dwordx2 v[1:2], v[8:9], off offset:3072
	v_lshrrev_b32_e32 v1, 9, v4
	v_mul_u32_u24_e32 v2, 0x280, v1
	v_sub_u32_e32 v2, v3, v2
	s_movk_i32 s1, 0xa00
	v_mad_u32_u24 v5, v1, s1, v2
	v_lshlrev_b64 v[1:2], 3, v[5:6]
	v_add_u32_e32 v3, 0x100, v0
	v_add_co_u32_e32 v1, vcc, v7, v1
	v_addc_co_u32_e32 v2, vcc, v10, v2, vcc
	global_store_dwordx2 v[1:2], v[31:32], off
	v_add_u32_e32 v1, 0x280, v5
	v_mov_b32_e32 v2, v6
	v_lshlrev_b64 v[1:2], 3, v[1:2]
	v_mul_hi_u32 v4, v3, s0
	v_add_co_u32_e32 v1, vcc, v7, v1
	v_addc_co_u32_e32 v2, vcc, v10, v2, vcc
	global_store_dwordx2 v[1:2], v[39:40], off
	v_add_u32_e32 v1, 0x500, v5
	v_mov_b32_e32 v2, v6
	v_lshlrev_b64 v[1:2], 3, v[1:2]
	v_add_u32_e32 v5, 0x780, v5
	v_add_co_u32_e32 v1, vcc, v7, v1
	v_addc_co_u32_e32 v2, vcc, v10, v2, vcc
	global_store_dwordx2 v[1:2], v[24:25], off
	v_lshlrev_b64 v[1:2], 3, v[5:6]
	v_add_co_u32_e32 v1, vcc, v7, v1
	v_addc_co_u32_e32 v2, vcc, v10, v2, vcc
	global_store_dwordx2 v[1:2], v[13:14], off
	v_lshrrev_b32_e32 v1, 9, v4
	v_mul_u32_u24_e32 v2, 0x280, v1
	v_sub_u32_e32 v2, v3, v2
	v_mad_u32_u24 v5, v1, s1, v2
	v_lshlrev_b64 v[1:2], 3, v[5:6]
	v_add_u32_e32 v3, 0x180, v0
	v_add_co_u32_e32 v1, vcc, v7, v1
	v_addc_co_u32_e32 v2, vcc, v10, v2, vcc
	global_store_dwordx2 v[1:2], v[29:30], off
	v_add_u32_e32 v1, 0x280, v5
	v_mov_b32_e32 v2, v6
	v_lshlrev_b64 v[1:2], 3, v[1:2]
	v_mul_hi_u32 v4, v3, s0
	v_add_co_u32_e32 v1, vcc, v7, v1
	v_addc_co_u32_e32 v2, vcc, v10, v2, vcc
	global_store_dwordx2 v[1:2], v[70:71], off
	v_add_u32_e32 v1, 0x500, v5
	v_mov_b32_e32 v2, v6
	v_lshlrev_b64 v[1:2], 3, v[1:2]
	v_add_u32_e32 v5, 0x780, v5
	v_add_co_u32_e32 v1, vcc, v7, v1
	v_addc_co_u32_e32 v2, vcc, v10, v2, vcc
	global_store_dwordx2 v[1:2], v[16:17], off
	v_lshlrev_b64 v[1:2], 3, v[5:6]
	v_add_co_u32_e32 v1, vcc, v7, v1
	v_addc_co_u32_e32 v2, vcc, v10, v2, vcc
	global_store_dwordx2 v[1:2], v[61:62], off
	v_lshrrev_b32_e32 v1, 9, v4
	v_mul_u32_u24_e32 v2, 0x280, v1
	v_sub_u32_e32 v2, v3, v2
	;; [unrolled: 27-line block ×3, first 2 shown]
	v_mad_u32_u24 v5, v0, s1, v1
	v_lshlrev_b64 v[0:1], 3, v[5:6]
	v_add_co_u32_e32 v0, vcc, v7, v0
	v_addc_co_u32_e32 v1, vcc, v10, v1, vcc
	global_store_dwordx2 v[0:1], v[56:57], off
	v_add_u32_e32 v0, 0x280, v5
	v_mov_b32_e32 v1, v6
	v_lshlrev_b64 v[0:1], 3, v[0:1]
	v_add_co_u32_e32 v0, vcc, v7, v0
	v_addc_co_u32_e32 v1, vcc, v10, v1, vcc
	global_store_dwordx2 v[0:1], v[47:48], off
	v_add_u32_e32 v0, 0x500, v5
	v_mov_b32_e32 v1, v6
	v_lshlrev_b64 v[0:1], 3, v[0:1]
	v_add_u32_e32 v5, 0x780, v5
	v_add_co_u32_e32 v0, vcc, v7, v0
	v_addc_co_u32_e32 v1, vcc, v10, v1, vcc
	global_store_dwordx2 v[0:1], v[26:27], off
	v_lshlrev_b64 v[0:1], 3, v[5:6]
	v_add_co_u32_e32 v0, vcc, v7, v0
	v_addc_co_u32_e32 v1, vcc, v10, v1, vcc
	global_store_dwordx2 v[0:1], v[44:45], off
.LBB0_15:
	s_endpgm
	.section	.rodata,"a",@progbits
	.p2align	6, 0x0
	.amdhsa_kernel fft_rtc_back_len2560_factors_4_4_4_10_4_wgs_128_tpt_128_halfLds_sp_op_CI_CI_unitstride_sbrr_dirReg
		.amdhsa_group_segment_fixed_size 0
		.amdhsa_private_segment_fixed_size 0
		.amdhsa_kernarg_size 104
		.amdhsa_user_sgpr_count 6
		.amdhsa_user_sgpr_private_segment_buffer 1
		.amdhsa_user_sgpr_dispatch_ptr 0
		.amdhsa_user_sgpr_queue_ptr 0
		.amdhsa_user_sgpr_kernarg_segment_ptr 1
		.amdhsa_user_sgpr_dispatch_id 0
		.amdhsa_user_sgpr_flat_scratch_init 0
		.amdhsa_user_sgpr_private_segment_size 0
		.amdhsa_uses_dynamic_stack 0
		.amdhsa_system_sgpr_private_segment_wavefront_offset 0
		.amdhsa_system_sgpr_workgroup_id_x 1
		.amdhsa_system_sgpr_workgroup_id_y 0
		.amdhsa_system_sgpr_workgroup_id_z 0
		.amdhsa_system_sgpr_workgroup_info 0
		.amdhsa_system_vgpr_workitem_id 0
		.amdhsa_next_free_vgpr 75
		.amdhsa_next_free_sgpr 28
		.amdhsa_reserve_vcc 1
		.amdhsa_reserve_flat_scratch 0
		.amdhsa_float_round_mode_32 0
		.amdhsa_float_round_mode_16_64 0
		.amdhsa_float_denorm_mode_32 3
		.amdhsa_float_denorm_mode_16_64 3
		.amdhsa_dx10_clamp 1
		.amdhsa_ieee_mode 1
		.amdhsa_fp16_overflow 0
		.amdhsa_exception_fp_ieee_invalid_op 0
		.amdhsa_exception_fp_denorm_src 0
		.amdhsa_exception_fp_ieee_div_zero 0
		.amdhsa_exception_fp_ieee_overflow 0
		.amdhsa_exception_fp_ieee_underflow 0
		.amdhsa_exception_fp_ieee_inexact 0
		.amdhsa_exception_int_div_zero 0
	.end_amdhsa_kernel
	.text
.Lfunc_end0:
	.size	fft_rtc_back_len2560_factors_4_4_4_10_4_wgs_128_tpt_128_halfLds_sp_op_CI_CI_unitstride_sbrr_dirReg, .Lfunc_end0-fft_rtc_back_len2560_factors_4_4_4_10_4_wgs_128_tpt_128_halfLds_sp_op_CI_CI_unitstride_sbrr_dirReg
                                        ; -- End function
	.section	.AMDGPU.csdata,"",@progbits
; Kernel info:
; codeLenInByte = 10224
; NumSgprs: 32
; NumVgprs: 75
; ScratchSize: 0
; MemoryBound: 0
; FloatMode: 240
; IeeeMode: 1
; LDSByteSize: 0 bytes/workgroup (compile time only)
; SGPRBlocks: 3
; VGPRBlocks: 18
; NumSGPRsForWavesPerEU: 32
; NumVGPRsForWavesPerEU: 75
; Occupancy: 3
; WaveLimiterHint : 1
; COMPUTE_PGM_RSRC2:SCRATCH_EN: 0
; COMPUTE_PGM_RSRC2:USER_SGPR: 6
; COMPUTE_PGM_RSRC2:TRAP_HANDLER: 0
; COMPUTE_PGM_RSRC2:TGID_X_EN: 1
; COMPUTE_PGM_RSRC2:TGID_Y_EN: 0
; COMPUTE_PGM_RSRC2:TGID_Z_EN: 0
; COMPUTE_PGM_RSRC2:TIDIG_COMP_CNT: 0
	.type	__hip_cuid_1236c18f04f74a1a,@object ; @__hip_cuid_1236c18f04f74a1a
	.section	.bss,"aw",@nobits
	.globl	__hip_cuid_1236c18f04f74a1a
__hip_cuid_1236c18f04f74a1a:
	.byte	0                               ; 0x0
	.size	__hip_cuid_1236c18f04f74a1a, 1

	.ident	"AMD clang version 19.0.0git (https://github.com/RadeonOpenCompute/llvm-project roc-6.4.0 25133 c7fe45cf4b819c5991fe208aaa96edf142730f1d)"
	.section	".note.GNU-stack","",@progbits
	.addrsig
	.addrsig_sym __hip_cuid_1236c18f04f74a1a
	.amdgpu_metadata
---
amdhsa.kernels:
  - .args:
      - .actual_access:  read_only
        .address_space:  global
        .offset:         0
        .size:           8
        .value_kind:     global_buffer
      - .offset:         8
        .size:           8
        .value_kind:     by_value
      - .actual_access:  read_only
        .address_space:  global
        .offset:         16
        .size:           8
        .value_kind:     global_buffer
      - .actual_access:  read_only
        .address_space:  global
        .offset:         24
        .size:           8
        .value_kind:     global_buffer
      - .actual_access:  read_only
        .address_space:  global
        .offset:         32
        .size:           8
        .value_kind:     global_buffer
      - .offset:         40
        .size:           8
        .value_kind:     by_value
      - .actual_access:  read_only
        .address_space:  global
        .offset:         48
        .size:           8
        .value_kind:     global_buffer
      - .actual_access:  read_only
        .address_space:  global
        .offset:         56
        .size:           8
        .value_kind:     global_buffer
      - .offset:         64
        .size:           4
        .value_kind:     by_value
      - .actual_access:  read_only
        .address_space:  global
        .offset:         72
        .size:           8
        .value_kind:     global_buffer
      - .actual_access:  read_only
        .address_space:  global
        .offset:         80
        .size:           8
        .value_kind:     global_buffer
      - .actual_access:  read_only
        .address_space:  global
        .offset:         88
        .size:           8
        .value_kind:     global_buffer
      - .actual_access:  write_only
        .address_space:  global
        .offset:         96
        .size:           8
        .value_kind:     global_buffer
    .group_segment_fixed_size: 0
    .kernarg_segment_align: 8
    .kernarg_segment_size: 104
    .language:       OpenCL C
    .language_version:
      - 2
      - 0
    .max_flat_workgroup_size: 128
    .name:           fft_rtc_back_len2560_factors_4_4_4_10_4_wgs_128_tpt_128_halfLds_sp_op_CI_CI_unitstride_sbrr_dirReg
    .private_segment_fixed_size: 0
    .sgpr_count:     32
    .sgpr_spill_count: 0
    .symbol:         fft_rtc_back_len2560_factors_4_4_4_10_4_wgs_128_tpt_128_halfLds_sp_op_CI_CI_unitstride_sbrr_dirReg.kd
    .uniform_work_group_size: 1
    .uses_dynamic_stack: false
    .vgpr_count:     75
    .vgpr_spill_count: 0
    .wavefront_size: 64
amdhsa.target:   amdgcn-amd-amdhsa--gfx906
amdhsa.version:
  - 1
  - 2
...

	.end_amdgpu_metadata
